;; amdgpu-corpus repo=ROCm/rocFFT kind=compiled arch=gfx906 opt=O3
	.text
	.amdgcn_target "amdgcn-amd-amdhsa--gfx906"
	.amdhsa_code_object_version 6
	.protected	fft_rtc_fwd_len896_factors_2_2_2_2_2_2_2_7_wgs_112_tpt_112_sp_ip_CI_unitstride_sbrr_R2C_dirReg ; -- Begin function fft_rtc_fwd_len896_factors_2_2_2_2_2_2_2_7_wgs_112_tpt_112_sp_ip_CI_unitstride_sbrr_R2C_dirReg
	.globl	fft_rtc_fwd_len896_factors_2_2_2_2_2_2_2_7_wgs_112_tpt_112_sp_ip_CI_unitstride_sbrr_R2C_dirReg
	.p2align	8
	.type	fft_rtc_fwd_len896_factors_2_2_2_2_2_2_2_7_wgs_112_tpt_112_sp_ip_CI_unitstride_sbrr_R2C_dirReg,@function
fft_rtc_fwd_len896_factors_2_2_2_2_2_2_2_7_wgs_112_tpt_112_sp_ip_CI_unitstride_sbrr_R2C_dirReg: ; @fft_rtc_fwd_len896_factors_2_2_2_2_2_2_2_7_wgs_112_tpt_112_sp_ip_CI_unitstride_sbrr_R2C_dirReg
; %bb.0:
	s_load_dwordx2 s[2:3], s[4:5], 0x50
	s_load_dwordx4 s[8:11], s[4:5], 0x0
	s_load_dwordx2 s[12:13], s[4:5], 0x18
	v_mul_u32_u24_e32 v1, 0x24a, v0
	v_add_u32_sdwa v5, s6, v1 dst_sel:DWORD dst_unused:UNUSED_PAD src0_sel:DWORD src1_sel:WORD_1
	v_mov_b32_e32 v3, 0
	s_waitcnt lgkmcnt(0)
	v_cmp_lt_u64_e64 s[0:1], s[10:11], 2
	v_mov_b32_e32 v1, 0
	v_mov_b32_e32 v6, v3
	s_and_b64 vcc, exec, s[0:1]
	v_mov_b32_e32 v2, 0
	s_cbranch_vccnz .LBB0_8
; %bb.1:
	s_load_dwordx2 s[0:1], s[4:5], 0x10
	s_add_u32 s6, s12, 8
	s_addc_u32 s7, s13, 0
	v_mov_b32_e32 v1, 0
	v_mov_b32_e32 v2, 0
	s_waitcnt lgkmcnt(0)
	s_add_u32 s14, s0, 8
	s_addc_u32 s15, s1, 0
	s_mov_b64 s[16:17], 1
.LBB0_2:                                ; =>This Inner Loop Header: Depth=1
	s_load_dwordx2 s[18:19], s[14:15], 0x0
                                        ; implicit-def: $vgpr7_vgpr8
	s_waitcnt lgkmcnt(0)
	v_or_b32_e32 v4, s19, v6
	v_cmp_ne_u64_e32 vcc, 0, v[3:4]
	s_and_saveexec_b64 s[0:1], vcc
	s_xor_b64 s[20:21], exec, s[0:1]
	s_cbranch_execz .LBB0_4
; %bb.3:                                ;   in Loop: Header=BB0_2 Depth=1
	v_cvt_f32_u32_e32 v4, s18
	v_cvt_f32_u32_e32 v7, s19
	s_sub_u32 s0, 0, s18
	s_subb_u32 s1, 0, s19
	v_mac_f32_e32 v4, 0x4f800000, v7
	v_rcp_f32_e32 v4, v4
	v_mul_f32_e32 v4, 0x5f7ffffc, v4
	v_mul_f32_e32 v7, 0x2f800000, v4
	v_trunc_f32_e32 v7, v7
	v_mac_f32_e32 v4, 0xcf800000, v7
	v_cvt_u32_f32_e32 v7, v7
	v_cvt_u32_f32_e32 v4, v4
	v_mul_lo_u32 v8, s0, v7
	v_mul_hi_u32 v9, s0, v4
	v_mul_lo_u32 v11, s1, v4
	v_mul_lo_u32 v10, s0, v4
	v_add_u32_e32 v8, v9, v8
	v_add_u32_e32 v8, v8, v11
	v_mul_hi_u32 v9, v4, v10
	v_mul_lo_u32 v11, v4, v8
	v_mul_hi_u32 v13, v4, v8
	v_mul_hi_u32 v12, v7, v10
	v_mul_lo_u32 v10, v7, v10
	v_mul_hi_u32 v14, v7, v8
	v_add_co_u32_e32 v9, vcc, v9, v11
	v_addc_co_u32_e32 v11, vcc, 0, v13, vcc
	v_mul_lo_u32 v8, v7, v8
	v_add_co_u32_e32 v9, vcc, v9, v10
	v_addc_co_u32_e32 v9, vcc, v11, v12, vcc
	v_addc_co_u32_e32 v10, vcc, 0, v14, vcc
	v_add_co_u32_e32 v8, vcc, v9, v8
	v_addc_co_u32_e32 v9, vcc, 0, v10, vcc
	v_add_co_u32_e32 v4, vcc, v4, v8
	v_addc_co_u32_e32 v7, vcc, v7, v9, vcc
	v_mul_lo_u32 v8, s0, v7
	v_mul_hi_u32 v9, s0, v4
	v_mul_lo_u32 v10, s1, v4
	v_mul_lo_u32 v11, s0, v4
	v_add_u32_e32 v8, v9, v8
	v_add_u32_e32 v8, v8, v10
	v_mul_lo_u32 v12, v4, v8
	v_mul_hi_u32 v13, v4, v11
	v_mul_hi_u32 v14, v4, v8
	;; [unrolled: 1-line block ×3, first 2 shown]
	v_mul_lo_u32 v11, v7, v11
	v_mul_hi_u32 v9, v7, v8
	v_add_co_u32_e32 v12, vcc, v13, v12
	v_addc_co_u32_e32 v13, vcc, 0, v14, vcc
	v_mul_lo_u32 v8, v7, v8
	v_add_co_u32_e32 v11, vcc, v12, v11
	v_addc_co_u32_e32 v10, vcc, v13, v10, vcc
	v_addc_co_u32_e32 v9, vcc, 0, v9, vcc
	v_add_co_u32_e32 v8, vcc, v10, v8
	v_addc_co_u32_e32 v9, vcc, 0, v9, vcc
	v_add_co_u32_e32 v4, vcc, v4, v8
	v_addc_co_u32_e32 v9, vcc, v7, v9, vcc
	v_mad_u64_u32 v[7:8], s[0:1], v5, v9, 0
	v_mul_hi_u32 v10, v5, v4
	v_add_co_u32_e32 v11, vcc, v10, v7
	v_addc_co_u32_e32 v12, vcc, 0, v8, vcc
	v_mad_u64_u32 v[7:8], s[0:1], v6, v4, 0
	v_mad_u64_u32 v[9:10], s[0:1], v6, v9, 0
	v_add_co_u32_e32 v4, vcc, v11, v7
	v_addc_co_u32_e32 v4, vcc, v12, v8, vcc
	v_addc_co_u32_e32 v7, vcc, 0, v10, vcc
	v_add_co_u32_e32 v4, vcc, v4, v9
	v_addc_co_u32_e32 v9, vcc, 0, v7, vcc
	v_mul_lo_u32 v10, s19, v4
	v_mul_lo_u32 v11, s18, v9
	v_mad_u64_u32 v[7:8], s[0:1], s18, v4, 0
	v_add3_u32 v8, v8, v11, v10
	v_sub_u32_e32 v10, v6, v8
	v_mov_b32_e32 v11, s19
	v_sub_co_u32_e32 v7, vcc, v5, v7
	v_subb_co_u32_e64 v10, s[0:1], v10, v11, vcc
	v_subrev_co_u32_e64 v11, s[0:1], s18, v7
	v_subbrev_co_u32_e64 v10, s[0:1], 0, v10, s[0:1]
	v_cmp_le_u32_e64 s[0:1], s19, v10
	v_cndmask_b32_e64 v12, 0, -1, s[0:1]
	v_cmp_le_u32_e64 s[0:1], s18, v11
	v_cndmask_b32_e64 v11, 0, -1, s[0:1]
	v_cmp_eq_u32_e64 s[0:1], s19, v10
	v_cndmask_b32_e64 v10, v12, v11, s[0:1]
	v_add_co_u32_e64 v11, s[0:1], 2, v4
	v_addc_co_u32_e64 v12, s[0:1], 0, v9, s[0:1]
	v_add_co_u32_e64 v13, s[0:1], 1, v4
	v_addc_co_u32_e64 v14, s[0:1], 0, v9, s[0:1]
	v_subb_co_u32_e32 v8, vcc, v6, v8, vcc
	v_cmp_ne_u32_e64 s[0:1], 0, v10
	v_cmp_le_u32_e32 vcc, s19, v8
	v_cndmask_b32_e64 v10, v14, v12, s[0:1]
	v_cndmask_b32_e64 v12, 0, -1, vcc
	v_cmp_le_u32_e32 vcc, s18, v7
	v_cndmask_b32_e64 v7, 0, -1, vcc
	v_cmp_eq_u32_e32 vcc, s19, v8
	v_cndmask_b32_e32 v7, v12, v7, vcc
	v_cmp_ne_u32_e32 vcc, 0, v7
	v_cndmask_b32_e64 v7, v13, v11, s[0:1]
	v_cndmask_b32_e32 v8, v9, v10, vcc
	v_cndmask_b32_e32 v7, v4, v7, vcc
.LBB0_4:                                ;   in Loop: Header=BB0_2 Depth=1
	s_andn2_saveexec_b64 s[0:1], s[20:21]
	s_cbranch_execz .LBB0_6
; %bb.5:                                ;   in Loop: Header=BB0_2 Depth=1
	v_cvt_f32_u32_e32 v4, s18
	s_sub_i32 s20, 0, s18
	v_rcp_iflag_f32_e32 v4, v4
	v_mul_f32_e32 v4, 0x4f7ffffe, v4
	v_cvt_u32_f32_e32 v4, v4
	v_mul_lo_u32 v7, s20, v4
	v_mul_hi_u32 v7, v4, v7
	v_add_u32_e32 v4, v4, v7
	v_mul_hi_u32 v4, v5, v4
	v_mul_lo_u32 v7, v4, s18
	v_add_u32_e32 v8, 1, v4
	v_sub_u32_e32 v7, v5, v7
	v_subrev_u32_e32 v9, s18, v7
	v_cmp_le_u32_e32 vcc, s18, v7
	v_cndmask_b32_e32 v7, v7, v9, vcc
	v_cndmask_b32_e32 v4, v4, v8, vcc
	v_add_u32_e32 v8, 1, v4
	v_cmp_le_u32_e32 vcc, s18, v7
	v_cndmask_b32_e32 v7, v4, v8, vcc
	v_mov_b32_e32 v8, v3
.LBB0_6:                                ;   in Loop: Header=BB0_2 Depth=1
	s_or_b64 exec, exec, s[0:1]
	v_mul_lo_u32 v4, v8, s18
	v_mul_lo_u32 v11, v7, s19
	v_mad_u64_u32 v[9:10], s[0:1], v7, s18, 0
	s_load_dwordx2 s[0:1], s[6:7], 0x0
	s_add_u32 s16, s16, 1
	v_add3_u32 v4, v10, v11, v4
	v_sub_co_u32_e32 v5, vcc, v5, v9
	v_subb_co_u32_e32 v4, vcc, v6, v4, vcc
	s_waitcnt lgkmcnt(0)
	v_mul_lo_u32 v4, s0, v4
	v_mul_lo_u32 v6, s1, v5
	v_mad_u64_u32 v[1:2], s[0:1], s0, v5, v[1:2]
	s_addc_u32 s17, s17, 0
	s_add_u32 s6, s6, 8
	v_add3_u32 v2, v6, v2, v4
	v_mov_b32_e32 v4, s10
	v_mov_b32_e32 v5, s11
	s_addc_u32 s7, s7, 0
	v_cmp_ge_u64_e32 vcc, s[16:17], v[4:5]
	s_add_u32 s14, s14, 8
	s_addc_u32 s15, s15, 0
	s_cbranch_vccnz .LBB0_9
; %bb.7:                                ;   in Loop: Header=BB0_2 Depth=1
	v_mov_b32_e32 v5, v7
	v_mov_b32_e32 v6, v8
	s_branch .LBB0_2
.LBB0_8:
	v_mov_b32_e32 v8, v6
	v_mov_b32_e32 v7, v5
.LBB0_9:
	s_lshl_b64 s[0:1], s[10:11], 3
	s_add_u32 s0, s12, s0
	s_addc_u32 s1, s13, s1
	s_load_dwordx2 s[6:7], s[0:1], 0x0
	s_load_dwordx2 s[10:11], s[4:5], 0x20
                                        ; implicit-def: $vgpr28
                                        ; implicit-def: $vgpr31
                                        ; implicit-def: $vgpr30
	s_waitcnt lgkmcnt(0)
	v_mad_u64_u32 v[1:2], s[0:1], s6, v7, v[1:2]
	s_mov_b32 s0, 0x2492493
	v_mul_lo_u32 v3, s6, v8
	v_mul_lo_u32 v4, s7, v7
	v_mul_hi_u32 v5, v0, s0
	v_cmp_gt_u64_e64 s[0:1], s[10:11], v[7:8]
	v_cmp_le_u64_e32 vcc, s[10:11], v[7:8]
	v_add3_u32 v2, v4, v2, v3
	v_mul_u32_u24_e32 v3, 0x70, v5
	v_sub_u32_e32 v24, v0, v3
	s_and_saveexec_b64 s[4:5], vcc
	s_xor_b64 s[4:5], exec, s[4:5]
; %bb.10:
	v_add_u32_e32 v28, 0x70, v24
	v_add_u32_e32 v31, 0xe0, v24
	;; [unrolled: 1-line block ×3, first 2 shown]
; %bb.11:
	s_or_saveexec_b64 s[4:5], s[4:5]
	v_lshlrev_b64 v[26:27], 3, v[1:2]
	s_xor_b64 exec, exec, s[4:5]
	s_cbranch_execz .LBB0_13
; %bb.12:
	v_mov_b32_e32 v25, 0
	v_mov_b32_e32 v0, s3
	v_add_co_u32_e32 v2, vcc, s2, v26
	v_addc_co_u32_e32 v3, vcc, v0, v27, vcc
	v_lshlrev_b64 v[0:1], 3, v[24:25]
	v_add_u32_e32 v28, 0x70, v24
	v_add_co_u32_e32 v0, vcc, v2, v0
	v_addc_co_u32_e32 v1, vcc, v3, v1, vcc
	v_add_co_u32_e32 v10, vcc, 0x1000, v0
	global_load_dwordx2 v[2:3], v[0:1], off
	global_load_dwordx2 v[4:5], v[0:1], off offset:896
	global_load_dwordx2 v[6:7], v[0:1], off offset:1792
	;; [unrolled: 1-line block ×3, first 2 shown]
	v_addc_co_u32_e32 v11, vcc, 0, v1, vcc
	global_load_dwordx2 v[12:13], v[0:1], off offset:3584
	global_load_dwordx2 v[14:15], v[10:11], off offset:384
	global_load_dwordx2 v[16:17], v[10:11], off offset:1280
	global_load_dwordx2 v[18:19], v[10:11], off offset:2176
	v_lshl_add_u32 v0, v24, 3, 0
	v_add_u32_e32 v31, 0xe0, v24
	v_add_u32_e32 v30, 0x150, v24
	;; [unrolled: 1-line block ×5, first 2 shown]
	s_waitcnt vmcnt(6)
	ds_write2_b64 v0, v[2:3], v[4:5] offset1:112
	s_waitcnt vmcnt(4)
	ds_write2_b64 v1, v[6:7], v[8:9] offset0:96 offset1:208
	s_waitcnt vmcnt(2)
	ds_write2_b64 v10, v[12:13], v[14:15] offset0:64 offset1:176
	;; [unrolled: 2-line block ×3, first 2 shown]
.LBB0_13:
	s_or_b64 exec, exec, s[4:5]
	v_lshlrev_b32_e32 v25, 3, v24
	v_add_u32_e32 v36, 0, v25
	v_add_u32_e32 v4, 0xc00, v36
	s_waitcnt lgkmcnt(0)
	s_barrier
	ds_read2_b64 v[0:3], v36 offset1:112
	ds_read2_b64 v[4:7], v4 offset0:64 offset1:176
	v_add_u32_e32 v8, 0x400, v36
	v_add_u32_e32 v16, 0x1400, v36
	ds_read2_b64 v[8:11], v8 offset0:96 offset1:208
	v_and_b32_e32 v34, 1, v24
	s_waitcnt lgkmcnt(1)
	v_sub_f32_e32 v12, v0, v4
	v_sub_f32_e32 v13, v1, v5
	;; [unrolled: 1-line block ×4, first 2 shown]
	ds_read2_b64 v[4:7], v16 offset0:32 offset1:144
	v_fma_f32 v0, v0, 2.0, -v12
	v_fma_f32 v1, v1, 2.0, -v13
	v_add_u32_e32 v16, v36, v25
	v_fma_f32 v2, v2, 2.0, -v14
	s_waitcnt lgkmcnt(0)
	v_sub_f32_e32 v4, v8, v4
	v_sub_f32_e32 v5, v9, v5
	;; [unrolled: 1-line block ×4, first 2 shown]
	v_fma_f32 v3, v3, 2.0, -v15
	v_fma_f32 v8, v8, 2.0, -v4
	;; [unrolled: 1-line block ×5, first 2 shown]
	s_barrier
	ds_write2_b64 v16, v[0:1], v[12:13] offset1:1
	v_lshl_add_u32 v0, v28, 4, 0
	v_lshl_add_u32 v38, v31, 4, 0
	;; [unrolled: 1-line block ×3, first 2 shown]
	v_lshlrev_b32_e32 v1, 3, v34
	ds_write2_b64 v0, v[2:3], v[14:15] offset1:1
	ds_write2_b64 v38, v[8:9], v[4:5] offset1:1
	;; [unrolled: 1-line block ×3, first 2 shown]
	s_waitcnt lgkmcnt(0)
	s_barrier
	global_load_dwordx2 v[16:17], v1, s[8:9]
	v_lshlrev_b32_e32 v2, 1, v24
	s_movk_i32 s4, 0xfc
	s_movk_i32 s5, 0x1fc
	v_lshlrev_b32_e32 v7, 1, v28
	v_lshlrev_b32_e32 v1, 3, v28
	;; [unrolled: 1-line block ×4, first 2 shown]
	v_and_or_b32 v6, v2, s4, v34
	v_and_or_b32 v8, v7, s5, v34
	v_sub_u32_e32 v3, v0, v1
	v_sub_u32_e32 v4, v38, v39
	v_sub_u32_e32 v5, v37, v29
	v_lshl_add_u32 v35, v6, 3, 0
	v_add_u32_e32 v6, 0x1000, v36
	v_lshl_add_u32 v40, v8, 3, 0
	ds_read2st64_b64 v[8:11], v36 offset1:7
	ds_read_b64 v[18:19], v5
	ds_read_b64 v[20:21], v4
	;; [unrolled: 1-line block ×3, first 2 shown]
	ds_read_b64 v[32:33], v36 offset:6272
	ds_read2_b64 v[12:15], v6 offset0:48 offset1:160
	s_waitcnt vmcnt(0) lgkmcnt(0)
	s_barrier
	s_movk_i32 s4, 0x3fc
	s_movk_i32 s5, 0x1f8
	;; [unrolled: 1-line block ×3, first 2 shown]
	v_sub_u32_e32 v1, 0, v1
	v_cmp_gt_u32_e32 vcc, 16, v24
	v_mul_f32_e32 v41, v17, v11
	v_mul_f32_e32 v42, v17, v10
	;; [unrolled: 1-line block ×4, first 2 shown]
	v_fma_f32 v10, v16, v10, -v41
	v_fmac_f32_e32 v42, v16, v11
	v_fma_f32 v12, v16, v12, -v43
	v_fmac_f32_e32 v44, v16, v13
	v_sub_f32_e32 v10, v8, v10
	v_sub_f32_e32 v11, v9, v42
	v_mul_f32_e32 v45, v17, v15
	v_mul_f32_e32 v46, v17, v14
	v_sub_f32_e32 v12, v22, v12
	v_sub_f32_e32 v13, v23, v44
	v_fma_f32 v8, v8, 2.0, -v10
	v_fma_f32 v9, v9, 2.0, -v11
	v_fma_f32 v14, v16, v14, -v45
	v_fmac_f32_e32 v46, v16, v15
	v_fma_f32 v22, v22, 2.0, -v12
	v_fma_f32 v23, v23, 2.0, -v13
	ds_write2_b64 v35, v[8:9], v[10:11] offset1:2
	ds_write2_b64 v40, v[22:23], v[12:13] offset1:2
	v_lshlrev_b32_e32 v8, 1, v31
	v_sub_f32_e32 v14, v20, v14
	v_sub_f32_e32 v15, v21, v46
	v_and_or_b32 v9, v8, s4, v34
	v_fma_f32 v20, v20, 2.0, -v14
	v_fma_f32 v21, v21, 2.0, -v15
	v_lshl_add_u32 v9, v9, 3, 0
	ds_write2_b64 v9, v[20:21], v[14:15] offset1:2
	v_mul_f32_e32 v9, v17, v33
	v_fma_f32 v9, v16, v32, -v9
	v_mul_f32_e32 v11, v16, v33
	v_fmac_f32_e32 v11, v17, v32
	v_sub_f32_e32 v10, v18, v9
	v_lshlrev_b32_e32 v9, 1, v30
	v_sub_f32_e32 v11, v19, v11
	v_and_or_b32 v14, v9, s4, v34
	v_fma_f32 v12, v18, 2.0, -v10
	v_fma_f32 v13, v19, 2.0, -v11
	v_lshl_add_u32 v14, v14, 3, 0
	ds_write2_b64 v14, v[12:13], v[10:11] offset1:2
	v_and_b32_e32 v10, 3, v24
	v_lshlrev_b32_e32 v11, 3, v10
	s_waitcnt lgkmcnt(0)
	s_barrier
	global_load_dwordx2 v[18:19], v11, s[8:9] offset:16
	s_movk_i32 s4, 0xf8
	v_and_or_b32 v11, v2, s4, v10
	v_and_or_b32 v12, v7, s5, v10
	;; [unrolled: 1-line block ×4, first 2 shown]
	v_lshl_add_u32 v41, v11, 3, 0
	v_lshl_add_u32 v42, v12, 3, 0
	;; [unrolled: 1-line block ×4, first 2 shown]
	ds_read2st64_b64 v[10:13], v36 offset1:7
	ds_read_b64 v[20:21], v4
	ds_read_b64 v[22:23], v5
	ds_read_b32 v45, v3 offset:4
	ds_read_b64 v[32:33], v3
	ds_read_b64 v[34:35], v36 offset:6272
	ds_read2_b64 v[14:17], v6 offset0:48 offset1:160
	v_and_b32_e32 v40, 7, v24
	s_waitcnt vmcnt(0) lgkmcnt(0)
	s_barrier
	s_movk_i32 s4, 0xf0
	s_movk_i32 s5, 0x1f0
	;; [unrolled: 1-line block ×3, first 2 shown]
	v_mul_f32_e32 v46, v19, v13
	v_mul_f32_e32 v47, v19, v12
	;; [unrolled: 1-line block ×8, first 2 shown]
	v_fma_f32 v12, v18, v12, -v46
	v_fmac_f32_e32 v47, v18, v13
	v_fma_f32 v14, v18, v14, -v48
	v_fmac_f32_e32 v49, v18, v15
	;; [unrolled: 2-line block ×4, first 2 shown]
	v_sub_f32_e32 v12, v10, v12
	v_sub_f32_e32 v13, v11, v47
	;; [unrolled: 1-line block ×8, first 2 shown]
	v_fma_f32 v10, v10, 2.0, -v12
	v_fma_f32 v11, v11, 2.0, -v13
	;; [unrolled: 1-line block ×8, first 2 shown]
	ds_write2_b64 v41, v[10:11], v[12:13] offset1:4
	ds_write2_b64 v42, v[32:33], v[14:15] offset1:4
	;; [unrolled: 1-line block ×4, first 2 shown]
	v_lshlrev_b32_e32 v10, 3, v40
	s_waitcnt lgkmcnt(0)
	s_barrier
	global_load_dwordx2 v[18:19], v10, s[8:9] offset:48
	v_and_or_b32 v10, v2, s4, v40
	v_and_or_b32 v11, v7, s5, v40
	;; [unrolled: 1-line block ×4, first 2 shown]
	v_lshl_add_u32 v42, v10, 3, 0
	v_lshl_add_u32 v43, v11, 3, 0
	;; [unrolled: 1-line block ×4, first 2 shown]
	ds_read2st64_b64 v[10:13], v36 offset1:7
	ds_read_b64 v[20:21], v4
	ds_read_b64 v[22:23], v5
	ds_read_b32 v46, v3 offset:4
	ds_read_b64 v[32:33], v3
	ds_read_b64 v[34:35], v36 offset:6272
	ds_read2_b64 v[14:17], v6 offset0:48 offset1:160
	v_and_b32_e32 v41, 15, v24
	v_lshlrev_b32_e32 v40, 3, v41
	s_waitcnt vmcnt(0) lgkmcnt(0)
	s_barrier
	s_movk_i32 s4, 0xe0
	s_movk_i32 s5, 0x1e0
	;; [unrolled: 1-line block ×3, first 2 shown]
	v_mul_f32_e32 v47, v19, v13
	v_mul_f32_e32 v48, v19, v12
	;; [unrolled: 1-line block ×8, first 2 shown]
	v_fma_f32 v12, v18, v12, -v47
	v_fmac_f32_e32 v48, v18, v13
	v_fma_f32 v14, v18, v14, -v49
	v_fmac_f32_e32 v50, v18, v15
	v_fma_f32 v16, v18, v16, -v51
	v_fmac_f32_e32 v52, v18, v17
	v_fma_f32 v18, v18, v34, -v53
	v_fmac_f32_e32 v35, v19, v34
	v_sub_f32_e32 v12, v10, v12
	v_sub_f32_e32 v13, v11, v48
	;; [unrolled: 1-line block ×8, first 2 shown]
	v_fma_f32 v10, v10, 2.0, -v12
	v_fma_f32 v11, v11, 2.0, -v13
	;; [unrolled: 1-line block ×8, first 2 shown]
	ds_write2_b64 v42, v[10:11], v[12:13] offset1:8
	ds_write2_b64 v43, v[32:33], v[14:15] offset1:8
	;; [unrolled: 1-line block ×4, first 2 shown]
	s_waitcnt lgkmcnt(0)
	s_barrier
	global_load_dwordx2 v[18:19], v40, s[8:9] offset:112
	v_and_or_b32 v10, v2, s4, v41
	v_and_or_b32 v11, v7, s5, v41
	v_and_or_b32 v12, v8, s6, v41
	v_and_or_b32 v13, v9, s6, v41
	v_lshl_add_u32 v46, v10, 3, 0
	v_lshl_add_u32 v47, v11, 3, 0
	;; [unrolled: 1-line block ×4, first 2 shown]
	ds_read2st64_b64 v[10:13], v36 offset1:7
	ds_read_b64 v[20:21], v4
	ds_read_b64 v[22:23], v5
	ds_read_b32 v50, v3 offset:4
	ds_read_b64 v[32:33], v3
	ds_read_b64 v[34:35], v36 offset:6272
	ds_read2_b64 v[14:17], v6 offset0:48 offset1:160
	v_and_b32_e32 v40, 31, v28
	v_and_b32_e32 v42, 31, v30
	;; [unrolled: 1-line block ×3, first 2 shown]
	v_lshlrev_b32_e32 v41, 3, v40
	v_lshlrev_b32_e32 v44, 3, v42
	;; [unrolled: 1-line block ×3, first 2 shown]
	s_waitcnt vmcnt(0) lgkmcnt(0)
	s_barrier
	s_movk_i32 s4, 0xc0
	s_movk_i32 s5, 0x1c0
	s_movk_i32 s6, 0x3c0
	v_mul_f32_e32 v51, v19, v13
	v_mul_f32_e32 v52, v19, v12
	;; [unrolled: 1-line block ×8, first 2 shown]
	v_fma_f32 v14, v18, v14, -v53
	v_fmac_f32_e32 v54, v18, v15
	v_fma_f32 v16, v18, v16, -v55
	v_fmac_f32_e32 v56, v18, v17
	;; [unrolled: 2-line block ×4, first 2 shown]
	v_sub_f32_e32 v12, v10, v12
	v_sub_f32_e32 v13, v11, v52
	;; [unrolled: 1-line block ×8, first 2 shown]
	v_fma_f32 v10, v10, 2.0, -v12
	v_fma_f32 v11, v11, 2.0, -v13
	;; [unrolled: 1-line block ×8, first 2 shown]
	ds_write2_b64 v46, v[10:11], v[12:13] offset1:16
	ds_write2_b64 v47, v[32:33], v[14:15] offset1:16
	;; [unrolled: 1-line block ×4, first 2 shown]
	s_waitcnt lgkmcnt(0)
	s_barrier
	global_load_dwordx2 v[18:19], v41, s[8:9] offset:240
	global_load_dwordx2 v[20:21], v44, s[8:9] offset:240
	;; [unrolled: 1-line block ×3, first 2 shown]
	v_and_or_b32 v10, v2, s4, v43
	v_and_or_b32 v11, v7, s5, v40
	;; [unrolled: 1-line block ×4, first 2 shown]
	v_lshl_add_u32 v51, v10, 3, 0
	v_lshl_add_u32 v52, v11, 3, 0
	;; [unrolled: 1-line block ×4, first 2 shown]
	ds_read2_b64 v[10:13], v6 offset0:48 offset1:160
	ds_read2st64_b64 v[14:17], v36 offset1:7
	ds_read_b64 v[32:33], v5
	ds_read_b64 v[34:35], v4
	;; [unrolled: 1-line block ×3, first 2 shown]
	ds_read_b64 v[42:43], v36 offset:6272
	v_and_b32_e32 v44, 63, v28
	v_and_b32_e32 v45, 63, v31
	;; [unrolled: 1-line block ×4, first 2 shown]
	v_lshlrev_b32_e32 v48, 3, v44
	v_lshlrev_b32_e32 v49, 3, v45
	;; [unrolled: 1-line block ×3, first 2 shown]
	s_waitcnt vmcnt(0) lgkmcnt(0)
	s_barrier
	s_movk_i32 s4, 0x80
	s_movk_i32 s5, 0x180
	;; [unrolled: 1-line block ×3, first 2 shown]
	v_and_or_b32 v2, v2, s4, v47
	v_and_or_b32 v7, v7, s5, v44
	v_and_or_b32 v8, v8, s6, v45
	v_and_or_b32 v9, v9, s6, v46
	v_mul_f32_e32 v55, v19, v11
	v_mul_f32_e32 v19, v19, v10
	v_mul_f32_e32 v56, v23, v13
	v_fma_f32 v55, v18, v10, -v55
	v_fmac_f32_e32 v19, v18, v11
	v_mul_f32_e32 v10, v23, v17
	v_mul_f32_e32 v11, v23, v16
	;; [unrolled: 1-line block ×3, first 2 shown]
	v_fma_f32 v56, v22, v12, -v56
	v_mul_f32_e32 v12, v21, v43
	v_mul_f32_e32 v21, v21, v42
	v_fma_f32 v10, v22, v16, -v10
	v_fmac_f32_e32 v11, v22, v17
	v_fmac_f32_e32 v18, v22, v13
	v_fma_f32 v22, v20, v42, -v12
	v_fmac_f32_e32 v21, v20, v43
	v_sub_f32_e32 v10, v14, v10
	v_sub_f32_e32 v11, v15, v11
	;; [unrolled: 1-line block ×8, first 2 shown]
	v_fma_f32 v14, v14, 2.0, -v10
	v_fma_f32 v15, v15, 2.0, -v11
	;; [unrolled: 1-line block ×8, first 2 shown]
	ds_write2_b64 v51, v[14:15], v[10:11] offset1:32
	ds_write2_b64 v52, v[20:21], v[12:13] offset1:32
	;; [unrolled: 1-line block ×4, first 2 shown]
	s_waitcnt lgkmcnt(0)
	s_barrier
	global_load_dwordx2 v[14:15], v48, s[8:9] offset:496
	v_lshlrev_b32_e32 v10, 3, v47
	global_load_dwordx2 v[16:17], v49, s[8:9] offset:496
	global_load_dwordx2 v[18:19], v50, s[8:9] offset:496
	;; [unrolled: 1-line block ×3, first 2 shown]
	v_lshl_add_u32 v34, v2, 3, 0
	v_lshl_add_u32 v35, v7, 3, 0
	;; [unrolled: 1-line block ×4, first 2 shown]
	ds_read2_b64 v[6:9], v6 offset0:48 offset1:160
	ds_read2st64_b64 v[10:13], v36 offset1:7
	ds_read_b64 v[22:23], v5
	ds_read_b64 v[4:5], v4
	;; [unrolled: 1-line block ×3, first 2 shown]
	ds_read_b64 v[32:33], v36 offset:6272
	s_waitcnt vmcnt(0) lgkmcnt(0)
	s_barrier
	v_mul_f32_e32 v42, v15, v7
	v_mul_f32_e32 v15, v15, v6
	;; [unrolled: 1-line block ×8, first 2 shown]
	v_fma_f32 v42, v14, v6, -v42
	v_fmac_f32_e32 v15, v14, v7
	v_fma_f32 v14, v16, v8, -v43
	v_fmac_f32_e32 v17, v16, v9
	;; [unrolled: 2-line block ×4, first 2 shown]
	v_sub_f32_e32 v6, v10, v6
	v_sub_f32_e32 v7, v11, v21
	;; [unrolled: 1-line block ×8, first 2 shown]
	v_fma_f32 v10, v10, 2.0, -v6
	v_fma_f32 v11, v11, 2.0, -v7
	;; [unrolled: 1-line block ×8, first 2 shown]
	ds_write2st64_b64 v34, v[10:11], v[6:7] offset1:1
	ds_write2st64_b64 v35, v[2:3], v[8:9] offset1:1
	;; [unrolled: 1-line block ×4, first 2 shown]
	s_waitcnt lgkmcnt(0)
	s_barrier
	ds_read2st64_b64 v[12:15], v36 offset1:2
	ds_read2st64_b64 v[20:23], v36 offset0:4 offset1:6
	ds_read_b64 v[34:35], v36 offset:6144
	ds_read2st64_b64 v[16:19], v36 offset0:8 offset1:10
	v_add_u32_e32 v40, v0, v1
                                        ; implicit-def: $vgpr3
                                        ; implicit-def: $vgpr7
                                        ; implicit-def: $vgpr11
	s_and_saveexec_b64 s[4:5], vcc
	s_cbranch_execz .LBB0_15
; %bb.14:
	v_add_u32_e32 v8, 0x180, v36
	ds_read_b64 v[32:33], v40
	ds_read2st64_b64 v[0:3], v8 offset0:3 offset1:5
	ds_read2st64_b64 v[4:7], v8 offset0:7 offset1:9
	;; [unrolled: 1-line block ×3, first 2 shown]
.LBB0_15:
	s_or_b64 exec, exec, s[4:5]
	v_mul_u32_u24_e32 v41, 6, v24
	v_lshlrev_b32_e32 v53, 3, v41
	global_load_dwordx4 v[41:44], v53, s[8:9] offset:1008
	global_load_dwordx4 v[45:48], v53, s[8:9] offset:1024
	global_load_dwordx4 v[49:52], v53, s[8:9] offset:1040
	s_mov_b32 s6, 0x3f5ff5aa
	s_mov_b32 s7, 0x3f3bfb3b
	;; [unrolled: 1-line block ×4, first 2 shown]
	s_waitcnt vmcnt(0) lgkmcnt(0)
	s_barrier
	v_mul_f32_e32 v53, v42, v15
	v_mul_f32_e32 v42, v42, v14
	;; [unrolled: 1-line block ×12, first 2 shown]
	v_fma_f32 v14, v41, v14, -v53
	v_fmac_f32_e32 v42, v41, v15
	v_fma_f32 v15, v43, v20, -v54
	v_fmac_f32_e32 v44, v43, v21
	v_fmac_f32_e32 v48, v47, v17
	v_fma_f32 v17, v49, v18, -v57
	v_fmac_f32_e32 v50, v49, v19
	v_fma_f32 v18, v51, v34, -v58
	;; [unrolled: 2-line block ×4, first 2 shown]
	v_add_f32_e32 v19, v14, v18
	v_add_f32_e32 v21, v42, v52
	;; [unrolled: 1-line block ×4, first 2 shown]
	v_sub_f32_e32 v14, v14, v18
	v_sub_f32_e32 v18, v42, v52
	;; [unrolled: 1-line block ×3, first 2 shown]
	v_add_f32_e32 v34, v20, v16
	v_add_f32_e32 v35, v46, v48
	v_sub_f32_e32 v16, v16, v20
	v_add_f32_e32 v41, v22, v19
	v_add_f32_e32 v42, v23, v21
	v_sub_f32_e32 v17, v44, v50
	v_sub_f32_e32 v20, v48, v46
	;; [unrolled: 1-line block ×8, first 2 shown]
	v_add_f32_e32 v45, v16, v15
	v_sub_f32_e32 v47, v16, v15
	v_sub_f32_e32 v15, v15, v14
	v_add_f32_e32 v34, v34, v41
	v_add_f32_e32 v35, v35, v42
	;; [unrolled: 1-line block ×3, first 2 shown]
	v_sub_f32_e32 v48, v20, v17
	v_sub_f32_e32 v16, v14, v16
	v_add_f32_e32 v14, v45, v14
	v_mul_f32_e32 v19, 0x3f4a47b2, v19
	v_mul_f32_e32 v21, 0x3f4a47b2, v21
	;; [unrolled: 1-line block ×5, first 2 shown]
	v_add_f32_e32 v12, v34, v12
	v_add_f32_e32 v13, v35, v13
	v_sub_f32_e32 v20, v18, v20
	v_sub_f32_e32 v17, v17, v18
	v_add_f32_e32 v18, v46, v18
	v_mul_f32_e32 v42, 0x3d64c772, v23
	v_mul_f32_e32 v46, 0xbf08b237, v48
	v_fma_f32 v41, v43, s7, -v41
	v_fma_f32 v43, v43, s10, -v19
	v_fmac_f32_e32 v19, 0x3d64c772, v22
	v_fma_f32 v22, v44, s10, -v21
	v_fmac_f32_e32 v21, 0x3d64c772, v23
	;; [unrolled: 2-line block ×3, first 2 shown]
	v_fma_f32 v47, v16, s11, -v47
	v_mov_b32_e32 v15, v12
	v_mov_b32_e32 v16, v13
	v_mul_f32_e32 v48, 0x3f5ff5aa, v17
	v_fma_f32 v42, v44, s7, -v42
	v_fma_f32 v44, v17, s6, -v46
	v_fmac_f32_e32 v46, 0x3eae86e6, v20
	v_fmac_f32_e32 v15, 0xbf955555, v34
	;; [unrolled: 1-line block ×3, first 2 shown]
	v_fma_f32 v34, v20, s11, -v48
	v_add_f32_e32 v35, v19, v15
	v_add_f32_e32 v48, v21, v16
	v_fmac_f32_e32 v45, 0x3ee1c552, v14
	v_fmac_f32_e32 v46, 0x3ee1c552, v18
	v_add_f32_e32 v20, v41, v15
	v_add_f32_e32 v21, v42, v16
	;; [unrolled: 1-line block ×4, first 2 shown]
	v_fmac_f32_e32 v23, 0x3ee1c552, v14
	v_fmac_f32_e32 v44, 0x3ee1c552, v18
	;; [unrolled: 1-line block ×4, first 2 shown]
	v_add_f32_e32 v14, v46, v35
	v_sub_f32_e32 v15, v48, v45
	v_add_f32_e32 v16, v34, v41
	v_sub_f32_e32 v17, v42, v47
	v_sub_f32_e32 v18, v20, v44
	v_add_f32_e32 v19, v23, v21
	v_add_f32_e32 v20, v44, v20
	v_sub_f32_e32 v21, v21, v23
	v_sub_f32_e32 v22, v41, v34
	v_add_f32_e32 v23, v47, v42
	v_sub_f32_e32 v34, v35, v46
	v_add_f32_e32 v35, v45, v48
	ds_write2st64_b64 v36, v[12:13], v[14:15] offset1:2
	ds_write2st64_b64 v36, v[16:17], v[18:19] offset0:4 offset1:6
	ds_write2st64_b64 v36, v[20:21], v[22:23] offset0:8 offset1:10
	ds_write_b64 v36, v[34:35] offset:6144
	s_and_saveexec_b64 s[4:5], vcc
	s_cbranch_execz .LBB0_17
; %bb.16:
	v_and_b32_e32 v12, 0x7f, v28
	v_mul_u32_u24_e32 v12, 6, v12
	v_lshlrev_b32_e32 v34, 3, v12
	global_load_dwordx4 v[12:15], v34, s[8:9] offset:1008
	global_load_dwordx4 v[16:19], v34, s[8:9] offset:1040
	;; [unrolled: 1-line block ×3, first 2 shown]
	s_waitcnt vmcnt(2)
	v_mul_f32_e32 v34, v1, v13
	s_waitcnt vmcnt(1)
	v_mul_f32_e32 v35, v11, v19
	;; [unrolled: 2-line block ×3, first 2 shown]
	v_mul_f32_e32 v42, v5, v21
	v_mul_f32_e32 v43, v3, v15
	;; [unrolled: 1-line block ×9, first 2 shown]
	v_fma_f32 v0, v0, v12, -v34
	v_fma_f32 v10, v10, v18, -v35
	v_fma_f32 v2, v2, v14, -v43
	v_fma_f32 v8, v8, v16, -v44
	v_fmac_f32_e32 v19, v11, v18
	v_fmac_f32_e32 v13, v1, v12
	;; [unrolled: 1-line block ×4, first 2 shown]
	v_fma_f32 v6, v6, v22, -v41
	v_fma_f32 v4, v4, v20, -v42
	v_fmac_f32_e32 v17, v9, v16
	v_fmac_f32_e32 v15, v3, v14
	v_sub_f32_e32 v1, v0, v10
	v_sub_f32_e32 v5, v2, v8
	v_add_f32_e32 v7, v13, v19
	v_add_f32_e32 v9, v21, v23
	;; [unrolled: 1-line block ×4, first 2 shown]
	v_sub_f32_e32 v3, v6, v4
	v_add_f32_e32 v11, v15, v17
	v_add_f32_e32 v4, v4, v6
	v_sub_f32_e32 v6, v13, v19
	v_sub_f32_e32 v8, v23, v21
	;; [unrolled: 1-line block ×4, first 2 shown]
	v_add_f32_e32 v19, v2, v0
	v_sub_f32_e32 v12, v1, v3
	v_sub_f32_e32 v13, v3, v5
	v_add_f32_e32 v3, v3, v5
	v_sub_f32_e32 v15, v9, v11
	v_add_f32_e32 v16, v11, v7
	v_sub_f32_e32 v17, v0, v4
	v_sub_f32_e32 v18, v4, v2
	;; [unrolled: 1-line block ×5, first 2 shown]
	v_mul_f32_e32 v2, 0x3f4a47b2, v14
	v_add_f32_e32 v4, v4, v19
	v_sub_f32_e32 v22, v5, v1
	v_mul_f32_e32 v13, 0xbf08b237, v13
	v_add_f32_e32 v23, v3, v1
	v_add_f32_e32 v3, v9, v16
	v_mul_f32_e32 v9, 0x3f4a47b2, v17
	v_mul_f32_e32 v17, 0xbf08b237, v21
	v_mov_b32_e32 v21, v2
	v_add_f32_e32 v0, v32, v4
	v_sub_f32_e32 v20, v6, v8
	v_add_f32_e32 v8, v8, v10
	v_mul_f32_e32 v14, 0x3d64c772, v15
	v_mul_f32_e32 v5, 0x3f5ff5aa, v22
	v_mov_b32_e32 v19, v13
	v_add_f32_e32 v1, v33, v3
	v_fmac_f32_e32 v21, 0x3d64c772, v15
	v_mov_b32_e32 v15, v0
	v_add_f32_e32 v8, v8, v6
	v_mov_b32_e32 v33, v9
	v_fma_f32 v34, v12, s11, -v5
	v_fmac_f32_e32 v19, 0x3eae86e6, v12
	v_mov_b32_e32 v12, v1
	v_fmac_f32_e32 v15, 0xbf955555, v4
	v_fma_f32 v4, v11, s10, -v9
	v_sub_f32_e32 v6, v10, v6
	v_mul_f32_e32 v16, 0x3d64c772, v18
	v_mov_b32_e32 v32, v17
	v_fma_f32 v2, v7, s10, -v2
	v_fmac_f32_e32 v33, 0x3d64c772, v18
	v_fmac_f32_e32 v12, 0xbf955555, v3
	v_add_f32_e32 v35, v4, v15
	v_mul_f32_e32 v4, 0x3f5ff5aa, v6
	v_fma_f32 v7, v7, s7, -v14
	v_fmac_f32_e32 v32, 0x3eae86e6, v20
	v_add_f32_e32 v18, v21, v12
	v_add_f32_e32 v21, v33, v15
	;; [unrolled: 1-line block ×3, first 2 shown]
	v_fma_f32 v10, v20, s11, -v4
	v_add_f32_e32 v9, v7, v12
	v_fma_f32 v12, v22, s6, -v13
	v_fma_f32 v13, v6, s6, -v17
	v_fma_f32 v6, v11, s7, -v16
	v_fmac_f32_e32 v19, 0x3ee1c552, v23
	v_fmac_f32_e32 v32, 0x3ee1c552, v8
	v_fmac_f32_e32 v10, 0x3ee1c552, v8
	v_fmac_f32_e32 v12, 0x3ee1c552, v23
	v_fmac_f32_e32 v13, 0x3ee1c552, v8
	v_add_f32_e32 v8, v6, v15
	v_fmac_f32_e32 v34, 0x3ee1c552, v23
	v_sub_f32_e32 v7, v9, v12
	v_add_f32_e32 v6, v13, v8
	v_add_f32_e32 v9, v12, v9
	v_sub_f32_e32 v8, v8, v13
	v_sub_f32_e32 v13, v18, v19
	v_add_f32_e32 v12, v32, v21
	v_sub_f32_e32 v4, v35, v10
	v_sub_f32_e32 v11, v33, v34
	v_add_f32_e32 v10, v10, v35
	ds_write2_b64 v36, v[0:1], v[12:13] offset0:112 offset1:240
	v_add_u32_e32 v0, 0x180, v36
	v_add_f32_e32 v3, v19, v18
	v_sub_f32_e32 v2, v21, v32
	v_add_f32_e32 v5, v34, v33
	ds_write2st64_b64 v0, v[10:11], v[8:9] offset0:5 offset1:7
	ds_write2st64_b64 v0, v[6:7], v[4:5] offset0:9 offset1:11
	ds_write_b64 v36, v[2:3] offset:7040
.LBB0_17:
	s_or_b64 exec, exec, s[4:5]
	s_waitcnt lgkmcnt(0)
	s_barrier
	ds_read_b64 v[2:3], v36
	s_add_u32 s6, s8, 0x1bf0
	s_addc_u32 s7, s9, 0
	v_sub_u32_e32 v4, 0, v25
	v_cmp_ne_u32_e32 vcc, 0, v24
                                        ; implicit-def: $vgpr0
                                        ; implicit-def: $vgpr5
                                        ; implicit-def: $vgpr6
	s_and_saveexec_b64 s[4:5], vcc
	s_xor_b64 s[4:5], exec, s[4:5]
	s_cbranch_execz .LBB0_19
; %bb.18:
	v_mov_b32_e32 v25, 0
	v_lshlrev_b64 v[0:1], 3, v[24:25]
	v_mov_b32_e32 v5, s7
	v_add_co_u32_e32 v0, vcc, s6, v0
	v_addc_co_u32_e32 v1, vcc, v5, v1, vcc
	global_load_dwordx2 v[7:8], v[0:1], off
	ds_read_b64 v[0:1], v4 offset:7168
	s_waitcnt lgkmcnt(0)
	v_add_f32_e32 v9, v0, v2
	v_sub_f32_e32 v0, v2, v0
	v_add_f32_e32 v5, v1, v3
	v_sub_f32_e32 v1, v3, v1
	v_mul_f32_e32 v3, 0.5, v0
	v_mul_f32_e32 v2, 0.5, v5
	;; [unrolled: 1-line block ×3, first 2 shown]
	s_waitcnt vmcnt(0)
	v_mul_f32_e32 v1, v8, v3
	v_fma_f32 v6, v2, v8, v0
	v_fma_f32 v8, v2, v8, -v0
	v_fma_f32 v5, 0.5, v9, v1
	v_fma_f32 v0, v9, 0.5, -v1
	v_fma_f32 v6, -v7, v3, v6
	v_fmac_f32_e32 v5, v7, v2
	v_fma_f32 v0, -v7, v2, v0
	v_fma_f32 v1, -v7, v3, v8
                                        ; implicit-def: $vgpr2_vgpr3
.LBB0_19:
	s_or_saveexec_b64 s[4:5], s[4:5]
	v_sub_u32_e32 v8, 0, v39
	v_sub_u32_e32 v7, 0, v29
	s_xor_b64 exec, exec, s[4:5]
	s_cbranch_execz .LBB0_21
; %bb.20:
	v_mov_b32_e32 v6, 0
	ds_read_b32 v1, v6 offset:3588
	s_waitcnt lgkmcnt(1)
	v_add_f32_e32 v5, v2, v3
	v_sub_f32_e32 v0, v2, v3
	s_waitcnt lgkmcnt(0)
	v_xor_b32_e32 v1, 0x80000000, v1
	ds_write_b32 v6, v1 offset:3588
	v_mov_b32_e32 v1, 0
.LBB0_21:
	s_or_b64 exec, exec, s[4:5]
	v_mov_b32_e32 v29, 0
	s_waitcnt lgkmcnt(0)
	v_lshlrev_b64 v[2:3], 3, v[28:29]
	v_mov_b32_e32 v9, s7
	v_add_co_u32_e32 v2, vcc, s6, v2
	v_addc_co_u32_e32 v3, vcc, v9, v3, vcc
	global_load_dwordx2 v[2:3], v[2:3], off
	v_mov_b32_e32 v32, v29
	v_lshlrev_b64 v[9:10], 3, v[31:32]
	v_mov_b32_e32 v11, s7
	v_add_co_u32_e32 v9, vcc, s6, v9
	v_addc_co_u32_e32 v10, vcc, v11, v10, vcc
	global_load_dwordx2 v[9:10], v[9:10], off
	v_mov_b32_e32 v31, v29
	v_lshlrev_b64 v[11:12], 3, v[30:31]
	v_mov_b32_e32 v13, s7
	v_add_co_u32_e32 v11, vcc, s6, v11
	v_addc_co_u32_e32 v12, vcc, v13, v12, vcc
	global_load_dwordx2 v[11:12], v[11:12], off
	ds_write2_b32 v36, v5, v6 offset1:1
	ds_write_b64 v4, v[0:1] offset:7168
	ds_read_b64 v[0:1], v40
	ds_read_b64 v[5:6], v4 offset:6272
	v_add_u32_e32 v8, v38, v8
	s_waitcnt lgkmcnt(0)
	v_add_f32_e32 v13, v0, v5
	v_add_f32_e32 v14, v1, v6
	v_sub_f32_e32 v0, v0, v5
	v_sub_f32_e32 v1, v1, v6
	v_mul_f32_e32 v5, 0.5, v14
	v_mul_f32_e32 v0, 0.5, v0
	;; [unrolled: 1-line block ×3, first 2 shown]
	s_waitcnt vmcnt(2)
	v_mul_f32_e32 v6, v3, v0
	v_fma_f32 v14, v5, v3, v1
	v_fma_f32 v1, v5, v3, -v1
	v_fma_f32 v3, 0.5, v13, v6
	v_fma_f32 v14, -v2, v0, v14
	v_fma_f32 v6, v13, 0.5, -v6
	v_fma_f32 v0, -v2, v0, v1
	v_fmac_f32_e32 v3, v2, v5
	ds_write_b32 v40, v14 offset:4
	v_fma_f32 v1, -v2, v5, v6
	ds_write_b32 v4, v0 offset:6276
	ds_write_b32 v40, v3
	ds_write_b32 v4, v1 offset:6272
	ds_read_b64 v[0:1], v8
	ds_read_b64 v[2:3], v4 offset:5376
	v_add_u32_e32 v5, v37, v7
	s_waitcnt lgkmcnt(0)
	v_add_f32_e32 v6, v0, v2
	v_add_f32_e32 v7, v1, v3
	v_sub_f32_e32 v0, v0, v2
	v_sub_f32_e32 v1, v1, v3
	v_mul_f32_e32 v2, 0.5, v7
	v_mul_f32_e32 v0, 0.5, v0
	;; [unrolled: 1-line block ×3, first 2 shown]
	s_waitcnt vmcnt(1)
	v_mul_f32_e32 v3, v10, v0
	v_fma_f32 v7, v2, v10, v1
	v_fma_f32 v1, v2, v10, -v1
	v_fma_f32 v10, 0.5, v6, v3
	v_fma_f32 v7, -v9, v0, v7
	v_fma_f32 v3, v6, 0.5, -v3
	v_fma_f32 v0, -v9, v0, v1
	v_fmac_f32_e32 v10, v9, v2
	ds_write_b32 v8, v7 offset:4
	v_fma_f32 v1, -v9, v2, v3
	ds_write_b32 v4, v0 offset:5380
	ds_write_b32 v8, v10
	ds_write_b32 v4, v1 offset:5376
	ds_read_b64 v[0:1], v5
	ds_read_b64 v[2:3], v4 offset:4480
	s_waitcnt lgkmcnt(0)
	v_add_f32_e32 v6, v0, v2
	v_add_f32_e32 v7, v1, v3
	v_sub_f32_e32 v0, v0, v2
	v_sub_f32_e32 v1, v1, v3
	v_mul_f32_e32 v2, 0.5, v7
	v_mul_f32_e32 v0, 0.5, v0
	v_mul_f32_e32 v1, 0.5, v1
	s_waitcnt vmcnt(0)
	v_mul_f32_e32 v3, v12, v0
	v_fma_f32 v7, v2, v12, v1
	v_fma_f32 v1, v2, v12, -v1
	v_fma_f32 v8, 0.5, v6, v3
	v_fma_f32 v7, -v11, v0, v7
	v_fma_f32 v3, v6, 0.5, -v3
	v_fma_f32 v0, -v11, v0, v1
	v_fmac_f32_e32 v8, v11, v2
	ds_write_b32 v5, v7 offset:4
	v_fma_f32 v1, -v11, v2, v3
	ds_write_b32 v4, v0 offset:4484
	ds_write_b32 v5, v8
	ds_write_b32 v4, v1 offset:4480
	s_waitcnt lgkmcnt(0)
	s_barrier
	s_and_saveexec_b64 s[4:5], s[0:1]
	s_cbranch_execz .LBB0_24
; %bb.22:
	v_mov_b32_e32 v25, v29
	v_mov_b32_e32 v0, s3
	v_add_co_u32_e32 v1, vcc, s2, v26
	v_lshlrev_b64 v[6:7], 3, v[24:25]
	ds_read2_b64 v[2:5], v36 offset1:112
	v_addc_co_u32_e32 v0, vcc, v0, v27, vcc
	v_add_co_u32_e32 v14, vcc, v1, v6
	v_add_u32_e32 v6, 0x400, v36
	v_addc_co_u32_e32 v15, vcc, v0, v7, vcc
	ds_read2_b64 v[6:9], v6 offset0:96 offset1:208
	v_add_u32_e32 v10, 0xc00, v36
	ds_read2_b64 v[10:13], v10 offset0:64 offset1:176
	s_waitcnt lgkmcnt(2)
	global_store_dwordx2 v[14:15], v[2:3], off
	global_store_dwordx2 v[14:15], v[4:5], off offset:896
	s_waitcnt lgkmcnt(1)
	global_store_dwordx2 v[14:15], v[6:7], off offset:1792
	global_store_dwordx2 v[14:15], v[8:9], off offset:2688
	s_waitcnt lgkmcnt(0)
	global_store_dwordx2 v[14:15], v[10:11], off offset:3584
	v_add_u32_e32 v2, 0x1400, v36
	ds_read2_b64 v[2:5], v2 offset0:32 offset1:144
	v_add_co_u32_e32 v6, vcc, 0x1000, v14
	v_addc_co_u32_e32 v7, vcc, 0, v15, vcc
	s_movk_i32 s0, 0x6f
	v_cmp_eq_u32_e32 vcc, s0, v24
	global_store_dwordx2 v[6:7], v[12:13], off offset:384
	s_waitcnt lgkmcnt(0)
	global_store_dwordx2 v[6:7], v[2:3], off offset:1280
	global_store_dwordx2 v[6:7], v[4:5], off offset:2176
	s_and_b64 exec, exec, vcc
	s_cbranch_execz .LBB0_24
; %bb.23:
	v_mov_b32_e32 v2, 0
	ds_read_b64 v[2:3], v2 offset:7168
	v_add_co_u32_e32 v4, vcc, 0x1000, v1
	v_addc_co_u32_e32 v5, vcc, 0, v0, vcc
	s_waitcnt lgkmcnt(0)
	global_store_dwordx2 v[4:5], v[2:3], off offset:3072
.LBB0_24:
	s_endpgm
	.section	.rodata,"a",@progbits
	.p2align	6, 0x0
	.amdhsa_kernel fft_rtc_fwd_len896_factors_2_2_2_2_2_2_2_7_wgs_112_tpt_112_sp_ip_CI_unitstride_sbrr_R2C_dirReg
		.amdhsa_group_segment_fixed_size 0
		.amdhsa_private_segment_fixed_size 0
		.amdhsa_kernarg_size 88
		.amdhsa_user_sgpr_count 6
		.amdhsa_user_sgpr_private_segment_buffer 1
		.amdhsa_user_sgpr_dispatch_ptr 0
		.amdhsa_user_sgpr_queue_ptr 0
		.amdhsa_user_sgpr_kernarg_segment_ptr 1
		.amdhsa_user_sgpr_dispatch_id 0
		.amdhsa_user_sgpr_flat_scratch_init 0
		.amdhsa_user_sgpr_private_segment_size 0
		.amdhsa_uses_dynamic_stack 0
		.amdhsa_system_sgpr_private_segment_wavefront_offset 0
		.amdhsa_system_sgpr_workgroup_id_x 1
		.amdhsa_system_sgpr_workgroup_id_y 0
		.amdhsa_system_sgpr_workgroup_id_z 0
		.amdhsa_system_sgpr_workgroup_info 0
		.amdhsa_system_vgpr_workitem_id 0
		.amdhsa_next_free_vgpr 59
		.amdhsa_next_free_sgpr 22
		.amdhsa_reserve_vcc 1
		.amdhsa_reserve_flat_scratch 0
		.amdhsa_float_round_mode_32 0
		.amdhsa_float_round_mode_16_64 0
		.amdhsa_float_denorm_mode_32 3
		.amdhsa_float_denorm_mode_16_64 3
		.amdhsa_dx10_clamp 1
		.amdhsa_ieee_mode 1
		.amdhsa_fp16_overflow 0
		.amdhsa_exception_fp_ieee_invalid_op 0
		.amdhsa_exception_fp_denorm_src 0
		.amdhsa_exception_fp_ieee_div_zero 0
		.amdhsa_exception_fp_ieee_overflow 0
		.amdhsa_exception_fp_ieee_underflow 0
		.amdhsa_exception_fp_ieee_inexact 0
		.amdhsa_exception_int_div_zero 0
	.end_amdhsa_kernel
	.text
.Lfunc_end0:
	.size	fft_rtc_fwd_len896_factors_2_2_2_2_2_2_2_7_wgs_112_tpt_112_sp_ip_CI_unitstride_sbrr_R2C_dirReg, .Lfunc_end0-fft_rtc_fwd_len896_factors_2_2_2_2_2_2_2_7_wgs_112_tpt_112_sp_ip_CI_unitstride_sbrr_R2C_dirReg
                                        ; -- End function
	.section	.AMDGPU.csdata,"",@progbits
; Kernel info:
; codeLenInByte = 6488
; NumSgprs: 26
; NumVgprs: 59
; ScratchSize: 0
; MemoryBound: 0
; FloatMode: 240
; IeeeMode: 1
; LDSByteSize: 0 bytes/workgroup (compile time only)
; SGPRBlocks: 3
; VGPRBlocks: 14
; NumSGPRsForWavesPerEU: 26
; NumVGPRsForWavesPerEU: 59
; Occupancy: 4
; WaveLimiterHint : 1
; COMPUTE_PGM_RSRC2:SCRATCH_EN: 0
; COMPUTE_PGM_RSRC2:USER_SGPR: 6
; COMPUTE_PGM_RSRC2:TRAP_HANDLER: 0
; COMPUTE_PGM_RSRC2:TGID_X_EN: 1
; COMPUTE_PGM_RSRC2:TGID_Y_EN: 0
; COMPUTE_PGM_RSRC2:TGID_Z_EN: 0
; COMPUTE_PGM_RSRC2:TIDIG_COMP_CNT: 0
	.type	__hip_cuid_5c7e01f701a40d4c,@object ; @__hip_cuid_5c7e01f701a40d4c
	.section	.bss,"aw",@nobits
	.globl	__hip_cuid_5c7e01f701a40d4c
__hip_cuid_5c7e01f701a40d4c:
	.byte	0                               ; 0x0
	.size	__hip_cuid_5c7e01f701a40d4c, 1

	.ident	"AMD clang version 19.0.0git (https://github.com/RadeonOpenCompute/llvm-project roc-6.4.0 25133 c7fe45cf4b819c5991fe208aaa96edf142730f1d)"
	.section	".note.GNU-stack","",@progbits
	.addrsig
	.addrsig_sym __hip_cuid_5c7e01f701a40d4c
	.amdgpu_metadata
---
amdhsa.kernels:
  - .args:
      - .actual_access:  read_only
        .address_space:  global
        .offset:         0
        .size:           8
        .value_kind:     global_buffer
      - .offset:         8
        .size:           8
        .value_kind:     by_value
      - .actual_access:  read_only
        .address_space:  global
        .offset:         16
        .size:           8
        .value_kind:     global_buffer
      - .actual_access:  read_only
        .address_space:  global
        .offset:         24
        .size:           8
        .value_kind:     global_buffer
      - .offset:         32
        .size:           8
        .value_kind:     by_value
      - .actual_access:  read_only
        .address_space:  global
        .offset:         40
        .size:           8
        .value_kind:     global_buffer
      - .actual_access:  read_only
        .address_space:  global
        .offset:         48
        .size:           8
        .value_kind:     global_buffer
      - .offset:         56
        .size:           4
        .value_kind:     by_value
      - .actual_access:  read_only
        .address_space:  global
        .offset:         64
        .size:           8
        .value_kind:     global_buffer
      - .actual_access:  read_only
        .address_space:  global
        .offset:         72
        .size:           8
        .value_kind:     global_buffer
      - .address_space:  global
        .offset:         80
        .size:           8
        .value_kind:     global_buffer
    .group_segment_fixed_size: 0
    .kernarg_segment_align: 8
    .kernarg_segment_size: 88
    .language:       OpenCL C
    .language_version:
      - 2
      - 0
    .max_flat_workgroup_size: 112
    .name:           fft_rtc_fwd_len896_factors_2_2_2_2_2_2_2_7_wgs_112_tpt_112_sp_ip_CI_unitstride_sbrr_R2C_dirReg
    .private_segment_fixed_size: 0
    .sgpr_count:     26
    .sgpr_spill_count: 0
    .symbol:         fft_rtc_fwd_len896_factors_2_2_2_2_2_2_2_7_wgs_112_tpt_112_sp_ip_CI_unitstride_sbrr_R2C_dirReg.kd
    .uniform_work_group_size: 1
    .uses_dynamic_stack: false
    .vgpr_count:     59
    .vgpr_spill_count: 0
    .wavefront_size: 64
amdhsa.target:   amdgcn-amd-amdhsa--gfx906
amdhsa.version:
  - 1
  - 2
...

	.end_amdgpu_metadata
